;; amdgpu-corpus repo=ROCm/rocFFT kind=compiled arch=gfx906 opt=O3
	.text
	.amdgcn_target "amdgcn-amd-amdhsa--gfx906"
	.amdhsa_code_object_version 6
	.protected	fft_rtc_back_len918_factors_17_9_2_3_wgs_102_tpt_102_halfLds_half_ip_CI_unitstride_sbrr_dirReg ; -- Begin function fft_rtc_back_len918_factors_17_9_2_3_wgs_102_tpt_102_halfLds_half_ip_CI_unitstride_sbrr_dirReg
	.globl	fft_rtc_back_len918_factors_17_9_2_3_wgs_102_tpt_102_halfLds_half_ip_CI_unitstride_sbrr_dirReg
	.p2align	8
	.type	fft_rtc_back_len918_factors_17_9_2_3_wgs_102_tpt_102_halfLds_half_ip_CI_unitstride_sbrr_dirReg,@function
fft_rtc_back_len918_factors_17_9_2_3_wgs_102_tpt_102_halfLds_half_ip_CI_unitstride_sbrr_dirReg: ; @fft_rtc_back_len918_factors_17_9_2_3_wgs_102_tpt_102_halfLds_half_ip_CI_unitstride_sbrr_dirReg
; %bb.0:
	s_load_dwordx2 s[12:13], s[4:5], 0x50
	s_load_dwordx4 s[8:11], s[4:5], 0x0
	s_load_dwordx2 s[2:3], s[4:5], 0x18
	v_mul_u32_u24_e32 v1, 0x283, v0
	v_add_u32_sdwa v5, s6, v1 dst_sel:DWORD dst_unused:UNUSED_PAD src0_sel:DWORD src1_sel:WORD_1
	v_mov_b32_e32 v3, 0
	s_waitcnt lgkmcnt(0)
	v_cmp_lt_u64_e64 s[0:1], s[10:11], 2
	v_mov_b32_e32 v1, 0
	v_mov_b32_e32 v6, v3
	s_and_b64 vcc, exec, s[0:1]
	v_mov_b32_e32 v2, 0
	s_cbranch_vccnz .LBB0_8
; %bb.1:
	s_load_dwordx2 s[0:1], s[4:5], 0x10
	s_add_u32 s6, s2, 8
	s_addc_u32 s7, s3, 0
	v_mov_b32_e32 v1, 0
	v_mov_b32_e32 v2, 0
	s_waitcnt lgkmcnt(0)
	s_add_u32 s14, s0, 8
	s_addc_u32 s15, s1, 0
	s_mov_b64 s[16:17], 1
.LBB0_2:                                ; =>This Inner Loop Header: Depth=1
	s_load_dwordx2 s[18:19], s[14:15], 0x0
                                        ; implicit-def: $vgpr7_vgpr8
	s_waitcnt lgkmcnt(0)
	v_or_b32_e32 v4, s19, v6
	v_cmp_ne_u64_e32 vcc, 0, v[3:4]
	s_and_saveexec_b64 s[0:1], vcc
	s_xor_b64 s[20:21], exec, s[0:1]
	s_cbranch_execz .LBB0_4
; %bb.3:                                ;   in Loop: Header=BB0_2 Depth=1
	v_cvt_f32_u32_e32 v4, s18
	v_cvt_f32_u32_e32 v7, s19
	s_sub_u32 s0, 0, s18
	s_subb_u32 s1, 0, s19
	v_mac_f32_e32 v4, 0x4f800000, v7
	v_rcp_f32_e32 v4, v4
	v_mul_f32_e32 v4, 0x5f7ffffc, v4
	v_mul_f32_e32 v7, 0x2f800000, v4
	v_trunc_f32_e32 v7, v7
	v_mac_f32_e32 v4, 0xcf800000, v7
	v_cvt_u32_f32_e32 v7, v7
	v_cvt_u32_f32_e32 v4, v4
	v_mul_lo_u32 v8, s0, v7
	v_mul_hi_u32 v9, s0, v4
	v_mul_lo_u32 v11, s1, v4
	v_mul_lo_u32 v10, s0, v4
	v_add_u32_e32 v8, v9, v8
	v_add_u32_e32 v8, v8, v11
	v_mul_hi_u32 v9, v4, v10
	v_mul_lo_u32 v11, v4, v8
	v_mul_hi_u32 v13, v4, v8
	v_mul_hi_u32 v12, v7, v10
	v_mul_lo_u32 v10, v7, v10
	v_mul_hi_u32 v14, v7, v8
	v_add_co_u32_e32 v9, vcc, v9, v11
	v_addc_co_u32_e32 v11, vcc, 0, v13, vcc
	v_mul_lo_u32 v8, v7, v8
	v_add_co_u32_e32 v9, vcc, v9, v10
	v_addc_co_u32_e32 v9, vcc, v11, v12, vcc
	v_addc_co_u32_e32 v10, vcc, 0, v14, vcc
	v_add_co_u32_e32 v8, vcc, v9, v8
	v_addc_co_u32_e32 v9, vcc, 0, v10, vcc
	v_add_co_u32_e32 v4, vcc, v4, v8
	v_addc_co_u32_e32 v7, vcc, v7, v9, vcc
	v_mul_lo_u32 v8, s0, v7
	v_mul_hi_u32 v9, s0, v4
	v_mul_lo_u32 v10, s1, v4
	v_mul_lo_u32 v11, s0, v4
	v_add_u32_e32 v8, v9, v8
	v_add_u32_e32 v8, v8, v10
	v_mul_lo_u32 v12, v4, v8
	v_mul_hi_u32 v13, v4, v11
	v_mul_hi_u32 v14, v4, v8
	;; [unrolled: 1-line block ×3, first 2 shown]
	v_mul_lo_u32 v11, v7, v11
	v_mul_hi_u32 v9, v7, v8
	v_add_co_u32_e32 v12, vcc, v13, v12
	v_addc_co_u32_e32 v13, vcc, 0, v14, vcc
	v_mul_lo_u32 v8, v7, v8
	v_add_co_u32_e32 v11, vcc, v12, v11
	v_addc_co_u32_e32 v10, vcc, v13, v10, vcc
	v_addc_co_u32_e32 v9, vcc, 0, v9, vcc
	v_add_co_u32_e32 v8, vcc, v10, v8
	v_addc_co_u32_e32 v9, vcc, 0, v9, vcc
	v_add_co_u32_e32 v4, vcc, v4, v8
	v_addc_co_u32_e32 v9, vcc, v7, v9, vcc
	v_mad_u64_u32 v[7:8], s[0:1], v5, v9, 0
	v_mul_hi_u32 v10, v5, v4
	v_add_co_u32_e32 v11, vcc, v10, v7
	v_addc_co_u32_e32 v12, vcc, 0, v8, vcc
	v_mad_u64_u32 v[7:8], s[0:1], v6, v4, 0
	v_mad_u64_u32 v[9:10], s[0:1], v6, v9, 0
	v_add_co_u32_e32 v4, vcc, v11, v7
	v_addc_co_u32_e32 v4, vcc, v12, v8, vcc
	v_addc_co_u32_e32 v7, vcc, 0, v10, vcc
	v_add_co_u32_e32 v4, vcc, v4, v9
	v_addc_co_u32_e32 v9, vcc, 0, v7, vcc
	v_mul_lo_u32 v10, s19, v4
	v_mul_lo_u32 v11, s18, v9
	v_mad_u64_u32 v[7:8], s[0:1], s18, v4, 0
	v_add3_u32 v8, v8, v11, v10
	v_sub_u32_e32 v10, v6, v8
	v_mov_b32_e32 v11, s19
	v_sub_co_u32_e32 v7, vcc, v5, v7
	v_subb_co_u32_e64 v10, s[0:1], v10, v11, vcc
	v_subrev_co_u32_e64 v11, s[0:1], s18, v7
	v_subbrev_co_u32_e64 v10, s[0:1], 0, v10, s[0:1]
	v_cmp_le_u32_e64 s[0:1], s19, v10
	v_cndmask_b32_e64 v12, 0, -1, s[0:1]
	v_cmp_le_u32_e64 s[0:1], s18, v11
	v_cndmask_b32_e64 v11, 0, -1, s[0:1]
	v_cmp_eq_u32_e64 s[0:1], s19, v10
	v_cndmask_b32_e64 v10, v12, v11, s[0:1]
	v_add_co_u32_e64 v11, s[0:1], 2, v4
	v_addc_co_u32_e64 v12, s[0:1], 0, v9, s[0:1]
	v_add_co_u32_e64 v13, s[0:1], 1, v4
	v_addc_co_u32_e64 v14, s[0:1], 0, v9, s[0:1]
	v_subb_co_u32_e32 v8, vcc, v6, v8, vcc
	v_cmp_ne_u32_e64 s[0:1], 0, v10
	v_cmp_le_u32_e32 vcc, s19, v8
	v_cndmask_b32_e64 v10, v14, v12, s[0:1]
	v_cndmask_b32_e64 v12, 0, -1, vcc
	v_cmp_le_u32_e32 vcc, s18, v7
	v_cndmask_b32_e64 v7, 0, -1, vcc
	v_cmp_eq_u32_e32 vcc, s19, v8
	v_cndmask_b32_e32 v7, v12, v7, vcc
	v_cmp_ne_u32_e32 vcc, 0, v7
	v_cndmask_b32_e64 v7, v13, v11, s[0:1]
	v_cndmask_b32_e32 v8, v9, v10, vcc
	v_cndmask_b32_e32 v7, v4, v7, vcc
.LBB0_4:                                ;   in Loop: Header=BB0_2 Depth=1
	s_andn2_saveexec_b64 s[0:1], s[20:21]
	s_cbranch_execz .LBB0_6
; %bb.5:                                ;   in Loop: Header=BB0_2 Depth=1
	v_cvt_f32_u32_e32 v4, s18
	s_sub_i32 s20, 0, s18
	v_rcp_iflag_f32_e32 v4, v4
	v_mul_f32_e32 v4, 0x4f7ffffe, v4
	v_cvt_u32_f32_e32 v4, v4
	v_mul_lo_u32 v7, s20, v4
	v_mul_hi_u32 v7, v4, v7
	v_add_u32_e32 v4, v4, v7
	v_mul_hi_u32 v4, v5, v4
	v_mul_lo_u32 v7, v4, s18
	v_add_u32_e32 v8, 1, v4
	v_sub_u32_e32 v7, v5, v7
	v_subrev_u32_e32 v9, s18, v7
	v_cmp_le_u32_e32 vcc, s18, v7
	v_cndmask_b32_e32 v7, v7, v9, vcc
	v_cndmask_b32_e32 v4, v4, v8, vcc
	v_add_u32_e32 v8, 1, v4
	v_cmp_le_u32_e32 vcc, s18, v7
	v_cndmask_b32_e32 v7, v4, v8, vcc
	v_mov_b32_e32 v8, v3
.LBB0_6:                                ;   in Loop: Header=BB0_2 Depth=1
	s_or_b64 exec, exec, s[0:1]
	v_mul_lo_u32 v4, v8, s18
	v_mul_lo_u32 v11, v7, s19
	v_mad_u64_u32 v[9:10], s[0:1], v7, s18, 0
	s_load_dwordx2 s[0:1], s[6:7], 0x0
	s_add_u32 s16, s16, 1
	v_add3_u32 v4, v10, v11, v4
	v_sub_co_u32_e32 v5, vcc, v5, v9
	v_subb_co_u32_e32 v4, vcc, v6, v4, vcc
	s_waitcnt lgkmcnt(0)
	v_mul_lo_u32 v4, s0, v4
	v_mul_lo_u32 v6, s1, v5
	v_mad_u64_u32 v[1:2], s[0:1], s0, v5, v[1:2]
	s_addc_u32 s17, s17, 0
	s_add_u32 s6, s6, 8
	v_add3_u32 v2, v6, v2, v4
	v_mov_b32_e32 v4, s10
	v_mov_b32_e32 v5, s11
	s_addc_u32 s7, s7, 0
	v_cmp_ge_u64_e32 vcc, s[16:17], v[4:5]
	s_add_u32 s14, s14, 8
	s_addc_u32 s15, s15, 0
	s_cbranch_vccnz .LBB0_9
; %bb.7:                                ;   in Loop: Header=BB0_2 Depth=1
	v_mov_b32_e32 v5, v7
	v_mov_b32_e32 v6, v8
	s_branch .LBB0_2
.LBB0_8:
	v_mov_b32_e32 v8, v6
	v_mov_b32_e32 v7, v5
.LBB0_9:
	s_lshl_b64 s[0:1], s[10:11], 3
	s_add_u32 s0, s2, s0
	s_addc_u32 s1, s3, s1
	s_load_dwordx2 s[2:3], s[0:1], 0x0
	s_load_dwordx2 s[6:7], s[4:5], 0x20
	v_mov_b32_e32 v30, 0
                                        ; implicit-def: $vgpr22
                                        ; implicit-def: $vgpr23
                                        ; implicit-def: $vgpr9
                                        ; implicit-def: $vgpr24
                                        ; implicit-def: $vgpr10
                                        ; implicit-def: $vgpr25
                                        ; implicit-def: $vgpr11
                                        ; implicit-def: $vgpr26
                                        ; implicit-def: $vgpr12
                                        ; implicit-def: $vgpr27
                                        ; implicit-def: $vgpr13
                                        ; implicit-def: $vgpr28
                                        ; implicit-def: $vgpr14
                                        ; implicit-def: $vgpr29
                                        ; implicit-def: $vgpr15
                                        ; implicit-def: $vgpr37
                                        ; implicit-def: $vgpr16
                                        ; implicit-def: $vgpr36
                                        ; implicit-def: $vgpr17
                                        ; implicit-def: $vgpr35
                                        ; implicit-def: $vgpr18
                                        ; implicit-def: $vgpr34
                                        ; implicit-def: $vgpr19
                                        ; implicit-def: $vgpr33
                                        ; implicit-def: $vgpr20
                                        ; implicit-def: $vgpr32
                                        ; implicit-def: $vgpr21
                                        ; implicit-def: $vgpr31
	s_waitcnt lgkmcnt(0)
	v_mad_u64_u32 v[4:5], s[0:1], s2, v7, v[1:2]
	s_mov_b32 s0, 0x2828283
	v_mul_hi_u32 v1, v0, s0
	v_mul_lo_u32 v3, s2, v8
	v_mul_lo_u32 v6, s3, v7
	v_cmp_gt_u64_e32 vcc, s[6:7], v[7:8]
	v_mul_u32_u24_e32 v1, 0x66, v1
	v_sub_u32_e32 v2, v0, v1
	v_add3_u32 v5, v6, v5, v3
	v_cmp_gt_u32_e64 s[0:1], 54, v2
	v_lshlrev_b64 v[0:1], 2, v[4:5]
	s_and_b64 s[2:3], vcc, s[0:1]
	v_mov_b32_e32 v3, 0
                                        ; implicit-def: $vgpr4
                                        ; implicit-def: $vgpr7
                                        ; implicit-def: $vgpr5
                                        ; implicit-def: $vgpr8
	s_and_saveexec_b64 s[4:5], s[2:3]
	s_cbranch_execz .LBB0_11
; %bb.10:
	v_mov_b32_e32 v3, 0
	v_mov_b32_e32 v4, s13
	v_add_co_u32_e64 v5, s[2:3], s12, v0
	v_addc_co_u32_e64 v6, s[2:3], v4, v1, s[2:3]
	v_lshlrev_b64 v[3:4], 2, v[2:3]
	v_add_co_u32_e64 v3, s[2:3], v5, v3
	v_addc_co_u32_e64 v4, s[2:3], v6, v4, s[2:3]
	global_load_dword v30, v[3:4], off
	global_load_dword v7, v[3:4], off offset:216
	global_load_dword v22, v[3:4], off offset:432
	;; [unrolled: 1-line block ×16, first 2 shown]
	s_waitcnt vmcnt(16)
	v_lshrrev_b32_e32 v3, 16, v30
	s_waitcnt vmcnt(15)
	v_lshrrev_b32_e32 v4, 16, v7
	;; [unrolled: 2-line block ×17, first 2 shown]
.LBB0_11:
	s_or_b64 exec, exec, s[4:5]
	v_sub_f16_e32 v39, v4, v15
	v_add_f16_e32 v38, v7, v37
	s_mov_b32 s2, 0xbbdd
	v_mul_f16_e32 v54, 0xb1e1, v39
	v_sub_f16_e32 v41, v5, v16
	v_fma_f16 v6, v38, s2, -v54
	s_movk_i32 s2, 0x3b76
	v_add_f16_e32 v40, v22, v36
	v_mul_f16_e32 v55, 0x35c8, v41
	v_add_f16_e32 v6, v30, v6
	v_fma_f16 v42, v40, s2, -v55
	v_sub_f16_e32 v43, v8, v17
	v_add_f16_e32 v6, v6, v42
	s_mov_b32 s2, 0xbacd
	v_add_f16_e32 v42, v23, v35
	v_mul_f16_e32 v56, 0xb836, v43
	v_fma_f16 v44, v42, s2, -v56
	v_sub_f16_e32 v45, v9, v18
	v_add_f16_e32 v6, v6, v44
	s_movk_i32 s2, 0x39e9
	v_add_f16_e32 v44, v24, v34
	v_mul_f16_e32 v57, 0x3964, v45
	v_fma_f16 v46, v44, s2, -v57
	v_sub_f16_e32 v47, v10, v19
	v_add_f16_e32 v6, v6, v46
	s_mov_b32 s2, 0xb8d2
	v_add_f16_e32 v46, v25, v33
	v_mul_f16_e32 v58, 0xba62, v47
	v_fma_f16 v48, v46, s2, -v58
	v_sub_f16_e32 v49, v11, v20
	v_add_f16_e32 v6, v6, v48
	s_movk_i32 s2, 0x3722
	v_add_f16_e32 v48, v26, v32
	v_mul_f16_e32 v59, 0x3b29, v49
	;; [unrolled: 12-line block ×3, first 2 shown]
	v_fma_f16 v62, v52, s2, -v61
	v_add_f16_e32 v6, v62, v6
	s_movk_i32 s11, 0x35c8
	s_movk_i32 s10, 0x3964
	;; [unrolled: 1-line block ×4, first 2 shown]
	s_and_saveexec_b64 s[2:3], s[0:1]
	s_cbranch_execz .LBB0_13
; %bb.12:
	s_mov_b32 s21, 0x39e93b76
	v_pk_mul_f16 v69, v38, s21 op_sel_hi:[0,1]
	s_mov_b32 s21, 0xb964b5c8
	s_mov_b32 s22, 0x2de839e9
	v_pk_mul_f16 v70, v40, s22 op_sel_hi:[0,1]
	s_mov_b32 s22, 0xbbf7b964
	s_mov_b32 s23, 0xb8d23722
	v_pk_fma_f16 v76, v39, s21, v69 op_sel_hi:[0,1,1]
	s_mov_b32 s15, 0x2de83722
	v_pk_mul_f16 v71, v42, s23 op_sel_hi:[0,1]
	s_mov_b32 s23, 0xba62bb29
	s_mov_b32 s24, 0xbbdd2de8
	v_pk_add_f16 v76, v30, v76 op_sel_hi:[0,1]
	v_pk_fma_f16 v77, v41, s22, v70 op_sel_hi:[0,1,1]
	v_pk_mul_f16 v62, v38, s15 op_sel_hi:[0,1]
	s_mov_b32 s15, 0xbbf7bb29
	s_mov_b32 s16, 0xbbddb8d2
	v_pk_mul_f16 v72, v44, s24 op_sel_hi:[0,1]
	s_mov_b32 s24, 0xb1e1bbf7
	s_mov_b32 s25, 0xbacdb461
	v_pk_add_f16 v76, v76, v77
	v_pk_fma_f16 v77, v43, s23, v71 op_sel_hi:[0,1,1]
	v_pk_mul_f16 v63, v40, s16 op_sel_hi:[0,1]
	s_mov_b32 s16, 0xb1e1ba62
	s_mov_b32 s17, 0xb461bbdd
	v_pk_mul_f16 v73, v46, s25 op_sel_hi:[0,1]
	s_mov_b32 s25, 0x3836bbb2
	s_mov_b32 s26, 0xb461b8d2
	v_pk_add_f16 v76, v76, v77
	v_pk_fma_f16 v77, v45, s24, v72 op_sel_hi:[0,1,1]
	v_pk_fma_f16 v62, v39, s15, v62 op_sel_hi:[0,1,1]
	v_pk_mul_f16 v64, v42, s17 op_sel_hi:[0,1]
	s_mov_b32 s17, 0x3bb231e1
	s_mov_b32 s18, 0x3b76b461
	v_pk_mul_f16 v74, v48, s26 op_sel_hi:[0,1]
	s_mov_b32 s26, 0x3bb2ba62
	s_mov_b32 s27, 0x3722bacd
	v_pk_add_f16 v76, v76, v77
	v_pk_fma_f16 v77, v47, s25, v73 op_sel_hi:[0,1,1]
	v_pk_add_f16 v62, v30, v62 op_sel_hi:[0,1]
	v_pk_fma_f16 v63, v41, s16, v63 op_sel_hi:[0,1,1]
	v_pk_mul_f16 v65, v44, s18 op_sel_hi:[0,1]
	s_mov_b32 s18, 0x35c83bb2
	s_mov_b32 s19, 0x372239e9
	v_pk_mul_f16 v75, v50, s27 op_sel_hi:[0,1]
	s_mov_b32 s27, 0x3b29b836
	v_pk_add_f16 v76, v76, v77
	v_pk_fma_f16 v77, v49, s26, v74 op_sel_hi:[0,1,1]
	v_pk_add_f16 v62, v62, v63
	v_pk_fma_f16 v64, v43, s17, v64 op_sel_hi:[0,1,1]
	v_pk_mul_f16 v68, v46, s19 op_sel_hi:[0,1]
	s_mov_b32 s19, 0xbb293964
	s_mov_b32 s20, 0xbacd3b76
	v_pk_add_f16 v76, v76, v77
	v_pk_fma_f16 v77, v51, s27, v75 op_sel_hi:[0,1,1]
	v_pk_add_f16 v62, v62, v64
	v_pk_fma_f16 v65, v45, s18, v65 op_sel_hi:[0,1,1]
	v_pk_add_f16 v76, v76, v77
	v_pk_mul_f16 v77, v48, s20 op_sel_hi:[0,1]
	s_mov_b32 s20, 0xb836b5c8
	s_mov_b32 s21, 0xb8d22de8
	v_pk_add_f16 v62, v62, v65
	v_pk_fma_f16 v65, v47, s19, v68 op_sel_hi:[0,1,1]
	v_pk_mul_f16 v63, v50, s21 op_sel_hi:[0,1]
	s_mov_b32 s15, 0x3a62bbf7
	s_mov_b32 s16, 0x39e9bacd
	v_pk_add_f16 v62, v62, v65
	v_pk_fma_f16 v68, v49, s20, v77 op_sel_hi:[0,1,1]
	s_mov_b32 s5, 0xb8d2b461
	v_pk_mul_f16 v64, v52, s16 op_sel_hi:[0,1]
	s_mov_b32 s16, 0x3964b836
	s_mov_b32 s17, 0x3b76bbdd
	v_pk_add_f16 v62, v62, v68
	v_pk_fma_f16 v63, v51, s15, v63 op_sel_hi:[0,1,1]
	v_pk_mul_f16 v66, v38, s5 op_sel_hi:[0,1]
	s_mov_b32 s7, 0xba62bbb2
	s_mov_b32 s5, 0xb461bacd
	v_pk_mul_f16 v78, v52, s17 op_sel_hi:[0,1]
	s_mov_b32 s17, 0x35c8b1e1
	v_pk_add_f16 v63, v62, v63
	v_pk_fma_f16 v64, v53, s16, v64 op_sel_hi:[0,1,1]
	v_pk_mul_f16 v67, v40, s5 op_sel_hi:[0,1]
	s_mov_b32 s5, 0x3bb23836
	s_mov_b32 s14, 0x3b7639e9
	v_pk_fma_f16 v65, v53, s17, v78 op_sel_hi:[0,1,1]
	v_pk_add_f16 v63, v64, v63
	v_pk_fma_f16 v64, v39, s7, v66 op_sel_hi:[0,1,1]
	v_pk_add_f16 v62, v65, v76
	v_pk_add_f16 v64, v30, v64 op_sel_hi:[0,1]
	v_pk_fma_f16 v65, v41, s5, v67 op_sel_hi:[0,1,1]
	v_pk_mul_f16 v68, v42, s14 op_sel_hi:[0,1]
	s_mov_b32 s15, 0xb5c83964
	s_mov_b32 s14, 0xbacd3722
	v_pk_add_f16 v64, v64, v65
	v_pk_fma_f16 v65, v43, s15, v68 op_sel_hi:[0,1,1]
	s_mov_b32 s16, 0xb836bb29
	v_pk_mul_f16 v76, v44, s14 op_sel_hi:[0,1]
	s_mov_b32 s14, 0x2de8bbdd
	v_pk_add_f16 v64, v64, v65
	v_pk_fma_f16 v65, v45, s16, v76 op_sel_hi:[0,1,1]
	s_mov_b32 s17, 0x3bf7b1e1
	v_pk_mul_f16 v77, v46, s14 op_sel_hi:[0,1]
	;; [unrolled: 5-line block ×5, first 2 shown]
	v_pk_add_f16 v64, v64, v65
	v_pk_fma_f16 v65, v53, s20, v81 op_sel_hi:[0,1,1]
	v_pk_add_f16 v64, v65, v64
	s_mov_b32 s14, 0x5040100
	v_mul_f16_e32 v82, 0xb836, v39
	v_mul_f16_e32 v65, 0xbbdd, v38
	;; [unrolled: 1-line block ×3, first 2 shown]
	v_perm_b32 v54, v54, v82, s14
	v_perm_b32 v65, v65, v83, s14
	v_pk_add_f16 v54, v54, v65
	v_mul_f16_e32 v84, 0x3b29, v41
	v_mul_f16_e32 v65, 0x3b76, v40
	;; [unrolled: 1-line block ×3, first 2 shown]
	v_perm_b32 v55, v55, v84, s14
	v_perm_b32 v65, v65, v85, s14
	v_pk_add_f16 v55, v55, v65
	v_pk_add_f16 v54, v30, v54 op_sel_hi:[0,1]
	v_pk_add_f16 v54, v54, v55
	v_mul_f16_e32 v55, 0xbbf7, v43
	v_mul_f16_e32 v65, 0xbacd, v42
	v_mul_f16_e32 v86, 0x2de8, v42
	v_perm_b32 v56, v56, v55, s14
	v_perm_b32 v65, v65, v86, s14
	v_pk_add_f16 v56, v56, v65
	v_pk_add_f16 v54, v54, v56
	v_mul_f16_e32 v56, 0x3a62, v45
	v_mul_f16_e32 v65, 0x39e9, v44
	v_mul_f16_e32 v87, 0xb8d2, v44
	v_perm_b32 v57, v57, v56, s14
	v_perm_b32 v65, v65, v87, s14
	v_pk_add_f16 v57, v57, v65
	;; [unrolled: 7-line block ×6, first 2 shown]
	v_pk_add_f16 v65, v61, v54
	v_mad_u32_u24 v54, v2, 34, 0
	v_fma_f16 v61, v39, s11, v69
	ds_write_b128 v54, v[62:65] offset:2
	v_add_f16_e32 v61, v30, v61
	v_fma_f16 v62, v41, s10, v70
	v_add_f16_e32 v61, v61, v62
	v_fma_f16 v62, v43, s6, v71
	;; [unrolled: 2-line block ×3, first 2 shown]
	s_movk_i32 s4, 0x3bb2
	v_add_f16_e32 v61, v61, v62
	v_fma_f16 v62, v47, s4, v73
	s_movk_i32 s4, 0x3a62
	v_add_f16_e32 v61, v61, v62
	v_fma_f16 v62, v49, s4, v74
	;; [unrolled: 3-line block ×4, first 2 shown]
	v_add_f16_e32 v61, v62, v61
	v_add_f16_e32 v62, v30, v7
	;; [unrolled: 1-line block ×17, first 2 shown]
	s_mov_b32 s4, 0xffff
	v_pk_mul_f16 v63, v39, s7 op_sel_hi:[0,1]
	ds_write_b16 v54, v62
	v_bfi_b32 v62, s4, v83, v66
	v_bfi_b32 v63, s4, v82, v63
	v_pk_mul_f16 v64, v41, s5 op_sel_hi:[0,1]
	v_pk_add_f16 v62, v62, v63 neg_lo:[0,1] neg_hi:[0,1]
	v_bfi_b32 v63, s4, v85, v67
	v_bfi_b32 v64, s4, v84, v64
	v_pk_mul_f16 v65, v43, s15 op_sel_hi:[0,1]
	v_pk_add_f16 v63, v63, v64 neg_lo:[0,1] neg_hi:[0,1]
	v_pk_add_f16 v62, v30, v62 op_sel_hi:[0,1]
	v_bfi_b32 v66, s4, v86, v68
	v_bfi_b32 v55, s4, v55, v65
	v_pk_mul_f16 v64, v45, s16 op_sel_hi:[0,1]
	v_pk_add_f16 v62, v62, v63
	v_pk_add_f16 v55, v66, v55 neg_lo:[0,1] neg_hi:[0,1]
	v_pk_add_f16 v55, v62, v55
	v_bfi_b32 v62, s4, v87, v76
	v_bfi_b32 v56, s4, v56, v64
	v_pk_mul_f16 v63, v47, s17 op_sel_hi:[0,1]
	v_pk_add_f16 v56, v62, v56 neg_lo:[0,1] neg_hi:[0,1]
	v_pk_add_f16 v55, v55, v56
	v_bfi_b32 v56, s4, v88, v77
	v_bfi_b32 v57, s4, v57, v63
	v_pk_mul_f16 v67, v49, s18 op_sel_hi:[0,1]
	;; [unrolled: 5-line block ×4, first 2 shown]
	v_pk_add_f16 v56, v56, v57 neg_lo:[0,1] neg_hi:[0,1]
	v_pk_add_f16 v55, v55, v56
	v_bfi_b32 v56, s4, v91, v81
	v_bfi_b32 v57, s4, v60, v66
	v_pk_add_f16 v56, v56, v57 neg_lo:[0,1] neg_hi:[0,1]
	s_mov_b32 s5, 0x3bf73bb2
	v_pk_add_f16 v55, v56, v55
	s_mov_b32 s4, 0x2de8b461
	v_pk_mul_f16 v56, v39, s5 op_sel_hi:[0,1]
	s_mov_b32 s5, 0x31e1b836
	v_pk_fma_f16 v56, v38, s4, v56 op_sel_hi:[0,1,1]
	s_mov_b32 s4, 0xbbddbacd
	v_pk_mul_f16 v57, v41, s5 op_sel_hi:[0,1]
	v_pk_add_f16 v56, v30, v56 op_sel_hi:[0,1]
	v_pk_fma_f16 v57, v40, s4, v57 op_sel_hi:[0,1,1]
	s_mov_b32 s5, 0xbbb2b964
	v_pk_add_f16 v56, v56, v57
	s_mov_b32 s4, 0xb46139e9
	v_pk_mul_f16 v57, v43, s5 op_sel_hi:[0,1]
	v_pk_fma_f16 v57, v42, s4, v57 op_sel_hi:[0,1,1]
	s_mov_b32 s5, 0xb5c83b29
	v_pk_add_f16 v56, v56, v57
	s_mov_b32 s4, 0x3b763722
	v_pk_mul_f16 v57, v45, s5 op_sel_hi:[0,1]
	;; [unrolled: 5-line block ×6, first 2 shown]
	s_mov_b32 s5, 0x39643b29
	v_pk_fma_f16 v57, v52, s4, v57 op_sel_hi:[0,1,1]
	s_mov_b32 s4, 0x39e93722
	v_pk_mul_f16 v39, v39, s5 op_sel_hi:[0,1]
	v_pk_fma_f16 v38, v38, s4, v39 op_sel_hi:[0,1,1]
	s_mov_b32 s5, 0x3bf73a62
	v_pk_add_f16 v30, v30, v38 op_sel_hi:[0,1]
	s_mov_b32 s4, 0x2de8b8d2
	v_pk_mul_f16 v38, v41, s5 op_sel_hi:[0,1]
	v_pk_fma_f16 v38, v40, s4, v38 op_sel_hi:[0,1,1]
	s_mov_b32 s5, 0x3a62b1e1
	v_pk_add_f16 v30, v30, v38
	s_mov_b32 s4, 0xb8d2bbdd
	v_pk_mul_f16 v38, v43, s5 op_sel_hi:[0,1]
	v_pk_fma_f16 v38, v42, s4, v38 op_sel_hi:[0,1,1]
	s_mov_b32 s5, 0x31e1bbb2
	v_pk_add_f16 v30, v30, v38
	s_mov_b32 s4, 0xbbddb461
	v_pk_mul_f16 v38, v45, s5 op_sel_hi:[0,1]
	v_pk_fma_f16 v38, v44, s4, v38 op_sel_hi:[0,1,1]
	s_mov_b32 s5, 0xb836b964
	v_pk_add_f16 v30, v30, v38
	s_mov_b32 s4, 0xbacd39e9
	v_pk_mul_f16 v38, v47, s5 op_sel_hi:[0,1]
	v_pk_fma_f16 v38, v46, s4, v38 op_sel_hi:[0,1,1]
	s_mov_b32 s5, 0xbbb235c8
	v_pk_add_f16 v30, v30, v38
	s_mov_b32 s4, 0xb4613b76
	v_pk_mul_f16 v38, v49, s5 op_sel_hi:[0,1]
	v_pk_fma_f16 v38, v48, s4, v38 op_sel_hi:[0,1,1]
	s_mov_b32 s5, 0xbb293bf7
	v_pk_add_f16 v30, v30, v38
	s_mov_b32 s4, 0x37222de8
	v_pk_mul_f16 v38, v51, s5 op_sel_hi:[0,1]
	v_pk_fma_f16 v38, v50, s4, v38 op_sel_hi:[0,1,1]
	s_mov_b32 s5, 0xb5c83836
	v_pk_add_f16 v30, v30, v38
	s_mov_b32 s4, 0x3b76bacd
	v_pk_mul_f16 v38, v53, s5 op_sel_hi:[0,1]
	v_pk_fma_f16 v38, v52, s4, v38 op_sel_hi:[0,1,1]
	v_pk_add_f16 v56, v57, v56
	v_pk_add_f16 v30, v38, v30
	v_perm_b32 v38, v55, v6, s14
	v_alignbit_b32 v39, v56, v55, 16
	v_alignbit_b32 v41, v61, v30, 16
	;; [unrolled: 1-line block ×3, first 2 shown]
	ds_write_b128 v54, v[38:41] offset:18
.LBB0_13:
	s_or_b64 exec, exec, s[2:3]
	v_sub_f16_e32 v55, v7, v37
	s_mov_b32 s2, 0xb1e1b836
	v_add_f16_e32 v40, v4, v15
	v_sub_f16_e32 v48, v22, v36
	v_sub_f16_e32 v52, v26, v32
	s_mov_b32 s4, 0xbbddbacd
	v_pk_mul_f16 v32, v55, s2 op_sel_hi:[0,1]
	s_mov_b32 s2, 0x35c83b29
	v_add_f16_e32 v41, v5, v16
	v_sub_f16_e32 v49, v23, v35
	v_sub_f16_e32 v51, v25, v33
	s_mov_b32 s5, 0x3b763722
	v_pk_mul_f16 v33, v48, s2 op_sel_hi:[0,1]
	s_mov_b32 s2, 0xb836bbf7
	v_pk_fma_f16 v7, v40, s4, v32 op_sel_hi:[0,1,1]
	v_add_f16_e32 v42, v8, v17
	v_sub_f16_e32 v50, v24, v34
	s_mov_b32 s6, 0xbacd2de8
	v_pk_mul_f16 v34, v49, s2 op_sel_hi:[0,1]
	s_mov_b32 s2, 0x39643a62
	v_pk_add_f16 v7, v3, v7 op_sel_hi:[0,1]
	v_pk_fma_f16 v22, v41, s5, v33 op_sel_hi:[0,1,1]
	v_add_f16_e32 v43, v9, v18
	s_mov_b32 s7, 0x39e9b8d2
	v_pk_mul_f16 v35, v50, s2 op_sel_hi:[0,1]
	s_mov_b32 s2, 0xba62b5c8
	v_pk_add_f16 v7, v7, v22
	v_pk_fma_f16 v22, v42, s6, v34 op_sel_hi:[0,1,1]
	v_add_f16_e32 v44, v10, v19
	s_mov_b32 s10, 0xb8d23b76
	v_pk_mul_f16 v36, v51, s2 op_sel_hi:[0,1]
	s_mov_b32 s2, 0x3b29b1e1
	v_pk_add_f16 v7, v7, v22
	v_pk_fma_f16 v22, v43, s7, v35 op_sel_hi:[0,1,1]
	v_add_f16_e32 v45, v11, v20
	v_sub_f16_e32 v53, v27, v31
	s_mov_b32 s11, 0x3722bbdd
	v_pk_mul_f16 v37, v52, s2 op_sel_hi:[0,1]
	s_mov_b32 s2, 0xbbb23964
	v_pk_add_f16 v7, v7, v22
	v_pk_fma_f16 v22, v44, s10, v36 op_sel_hi:[0,1,1]
	v_add_f16_e32 v46, v12, v21
	s_mov_b32 s14, 0xb46139e9
	v_pk_mul_f16 v38, v53, s2 op_sel_hi:[0,1]
	v_pk_add_f16 v7, v7, v22
	v_pk_fma_f16 v22, v45, s11, v37 op_sel_hi:[0,1,1]
	v_pk_add_f16 v7, v7, v22
	v_pk_fma_f16 v22, v46, s14, v38 op_sel_hi:[0,1,1]
	v_pk_add_f16 v22, v7, v22
	v_lshl_add_u32 v7, v2, 1, 0
	v_sub_f16_e32 v54, v28, v29
	s_waitcnt lgkmcnt(0)
	s_barrier
	ds_read_u16 v23, v7
	ds_read_u16 v31, v7 offset:204
	ds_read_u16 v30, v7 offset:408
	;; [unrolled: 1-line block ×8, first 2 shown]
	s_mov_b32 s2, 0x3bf7bbb2
	v_add_f16_e32 v47, v13, v14
	s_mov_b32 s15, 0x2de8b461
	v_pk_mul_f16 v39, v54, s2 op_sel_hi:[0,1]
	v_pk_fma_f16 v56, v47, s15, v39 op_sel_hi:[0,1,1]
	v_pk_add_f16 v22, v56, v22
	s_waitcnt lgkmcnt(0)
	s_barrier
	s_and_saveexec_b64 s[2:3], s[0:1]
	s_cbranch_execz .LBB0_15
; %bb.14:
	s_mov_b32 s0, 0x5040100
	v_perm_b32 v57, v3, v3, s0
	v_add_f16_e32 v3, v3, v4
	v_add_f16_e32 v3, v3, v5
	;; [unrolled: 1-line block ×7, first 2 shown]
	v_pack_b32_f16 v55, v55, v55
	v_add_f16_e32 v3, v3, v13
	s_mov_b32 s1, 0xb964b5c8
	v_pack_b32_f16 v56, v40, v40
	v_pack_b32_f16 v48, v48, v48
	v_pk_mul_f16 v40, v40, s4 op_sel_hi:[0,1]
	v_add_f16_e32 v3, v3, v14
	s_mov_b32 s0, 0x39e93b76
	v_pk_mul_f16 v4, v55, s1
	s_mov_b32 s4, 0xbbf7b964
	v_pack_b32_f16 v58, v41, v41
	v_pack_b32_f16 v49, v49, v49
	v_pk_mul_f16 v41, v41, s5 op_sel_hi:[0,1]
	v_add_f16_e32 v3, v3, v21
	v_pk_fma_f16 v5, v56, s0, v4 neg_lo:[0,0,1] neg_hi:[0,0,1]
	s_mov_b32 s1, 0x2de839e9
	v_pk_mul_f16 v9, v48, s4
	s_mov_b32 s5, 0xba62bb29
	v_pack_b32_f16 v59, v42, v42
	v_pack_b32_f16 v50, v50, v50
	v_pk_mul_f16 v42, v42, s6 op_sel_hi:[0,1]
	v_add_f16_e32 v3, v20, v3
	v_pk_add_f16 v5, v57, v5
	v_pk_fma_f16 v8, v58, s1, v9 neg_lo:[0,0,1] neg_hi:[0,0,1]
	s_mov_b32 s4, 0xb8d23722
	v_pk_mul_f16 v10, v49, s5
	s_mov_b32 s6, 0xb1e1bbf7
	v_pack_b32_f16 v60, v43, v43
	v_pack_b32_f16 v51, v51, v51
	v_pk_mul_f16 v43, v43, s7 op_sel_hi:[0,1]
	v_add_f16_e32 v3, v19, v3
	v_pk_add_f16 v5, v5, v8
	;; [unrolled: 9-line block ×5, first 2 shown]
	v_pk_fma_f16 v8, v62, s7, v13 neg_lo:[0,0,1] neg_hi:[0,0,1]
	s_mov_b32 s10, 0x3722bacd
	v_pk_mul_f16 v14, v53, s11
	s_mov_b32 s14, 0x35c8b1e1
	v_pack_b32_f16 v64, v47, v47
	v_add_f16_e32 v3, v15, v3
	v_pk_add_f16 v5, v5, v8
	v_pk_fma_f16 v8, v63, s10, v14 neg_lo:[0,0,1] neg_hi:[0,0,1]
	s_mov_b32 s11, 0x3b76bbdd
	v_pk_mul_f16 v15, v54, s14
	v_pk_add_f16 v5, v5, v8
	v_pk_fma_f16 v8, v64, s11, v15 neg_lo:[0,0,1] neg_hi:[0,0,1]
	v_pk_fma_f16 v4, v56, s0, v4
	v_pk_add_f16 v8, v8, v5
	v_pk_add_f16 v4, v57, v4
	v_pk_fma_f16 v5, v58, s1, v9
	v_pk_add_f16 v4, v4, v5
	v_pk_fma_f16 v5, v59, s4, v10
	;; [unrolled: 2-line block ×7, first 2 shown]
	s_mov_b32 s1, 0xbbf7bb29
	v_pk_add_f16 v4, v5, v4
	s_mov_b32 s0, 0x2de83722
	v_pk_mul_f16 v5, v55, s1
	s_mov_b32 s4, 0xb1e1ba62
	v_pk_fma_f16 v9, v56, s0, v5 neg_lo:[0,0,1] neg_hi:[0,0,1]
	s_mov_b32 s1, 0xbbddb8d2
	v_pk_mul_f16 v10, v48, s4
	v_pk_add_f16 v9, v57, v9
	v_pk_fma_f16 v11, v58, s1, v10 neg_lo:[0,0,1] neg_hi:[0,0,1]
	s_mov_b32 s5, 0x3bb231e1
	v_pk_add_f16 v9, v9, v11
	s_mov_b32 s4, 0xb461bbdd
	v_pk_mul_f16 v11, v49, s5
	v_pk_fma_f16 v12, v59, s4, v11 neg_lo:[0,0,1] neg_hi:[0,0,1]
	s_mov_b32 s6, 0x35c83bb2
	v_pk_add_f16 v9, v9, v12
	s_mov_b32 s5, 0x3b76b461
	v_pk_mul_f16 v12, v50, s6
	;; [unrolled: 5-line block ×3, first 2 shown]
	v_pk_fma_f16 v5, v56, s0, v5
	v_pk_fma_f16 v14, v61, s6, v13 neg_lo:[0,0,1] neg_hi:[0,0,1]
	s_mov_b32 s10, 0xb836b5c8
	v_pk_add_f16 v5, v57, v5
	v_pk_fma_f16 v10, v58, s1, v10
	v_pk_add_f16 v9, v9, v14
	s_mov_b32 s7, 0xbacd3b76
	v_pk_mul_f16 v14, v52, s10
	v_pk_add_f16 v5, v5, v10
	v_pk_fma_f16 v10, v59, s4, v11
	v_pk_fma_f16 v15, v62, s7, v14 neg_lo:[0,0,1] neg_hi:[0,0,1]
	s_mov_b32 s11, 0x3a62bbf7
	v_pk_add_f16 v5, v5, v10
	v_pk_fma_f16 v10, v60, s5, v12
	v_pk_add_f16 v9, v9, v15
	s_mov_b32 s10, 0xb8d22de8
	v_pk_mul_f16 v15, v53, s11
	v_pk_add_f16 v5, v5, v10
	;; [unrolled: 9-line block ×3, first 2 shown]
	v_pk_fma_f16 v10, v63, s10, v15
	s_mov_b32 s1, 0xba62bbb2
	v_pk_add_f16 v5, v5, v10
	v_pk_fma_f16 v10, v64, s11, v16
	s_mov_b32 s0, 0xb8d2b461
	v_pk_mul_f16 v11, v55, s1
	s_mov_b32 s4, 0x3bb23836
	v_pk_add_f16 v5, v10, v5
	v_pk_fma_f16 v10, v56, s0, v11 neg_lo:[0,0,1] neg_hi:[0,0,1]
	s_mov_b32 s1, 0xb461bacd
	v_pk_mul_f16 v12, v48, s4
	v_pk_add_f16 v10, v57, v10
	v_pk_fma_f16 v13, v58, s1, v12 neg_lo:[0,0,1] neg_hi:[0,0,1]
	s_mov_b32 s5, 0xb5c83964
	v_pk_add_f16 v10, v10, v13
	s_mov_b32 s4, 0x3b7639e9
	v_pk_mul_f16 v13, v49, s5
	v_pk_fma_f16 v14, v59, s4, v13 neg_lo:[0,0,1] neg_hi:[0,0,1]
	s_mov_b32 s6, 0xb836bb29
	v_pk_add_f16 v10, v10, v14
	s_mov_b32 s5, 0xbacd3722
	v_pk_mul_f16 v14, v50, s6
	v_pk_fma_f16 v15, v60, s5, v14 neg_lo:[0,0,1] neg_hi:[0,0,1]
	s_mov_b32 s7, 0x3bf7b1e1
	v_pk_add_f16 v10, v10, v15
	s_mov_b32 s6, 0x2de8bbdd
	v_pk_mul_f16 v15, v51, s7
	v_pk_fma_f16 v11, v56, s0, v11
	v_pk_fma_f16 v17, v64, s11, v16 neg_lo:[0,0,1] neg_hi:[0,0,1]
	v_pk_fma_f16 v16, v61, s6, v15 neg_lo:[0,0,1] neg_hi:[0,0,1]
	s_mov_b32 s10, 0xb9643bf7
	v_pk_add_f16 v11, v57, v11
	v_pk_fma_f16 v12, v58, s1, v12
	v_pk_add_f16 v10, v10, v16
	s_mov_b32 s7, 0x39e92de8
	v_pk_mul_f16 v16, v52, s10
	v_pk_add_f16 v11, v11, v12
	v_pk_fma_f16 v12, v59, s4, v13
	v_pk_add_f16 v9, v17, v9
	v_pk_fma_f16 v17, v62, s7, v16 neg_lo:[0,0,1] neg_hi:[0,0,1]
	s_mov_b32 s11, 0xb1e1b5c8
	v_pk_add_f16 v11, v11, v12
	v_pk_fma_f16 v12, v60, s5, v14
	v_pk_add_f16 v10, v10, v17
	s_mov_b32 s10, 0xbbdd3b76
	v_pk_mul_f16 v17, v53, s11
	v_pk_add_f16 v11, v11, v12
	v_pk_fma_f16 v12, v61, s6, v15
	v_pk_fma_f16 v18, v63, s10, v17 neg_lo:[0,0,1] neg_hi:[0,0,1]
	s_mov_b32 s14, 0x3b29ba62
	v_pk_add_f16 v11, v11, v12
	v_pk_fma_f16 v12, v62, s7, v16
	v_pk_add_f16 v10, v10, v18
	s_mov_b32 s11, 0x3722b8d2
	v_pk_mul_f16 v18, v54, s14
	v_pk_add_f16 v11, v11, v12
	v_pk_fma_f16 v12, v63, s10, v17
	v_pk_add_f16 v11, v11, v12
	v_pk_fma_f16 v12, v64, s11, v18
	v_pk_add_f16 v12, v12, v11
	v_pk_add_f16 v11, v40, v32 neg_lo:[0,1] neg_hi:[0,1]
	v_pk_add_f16 v11, v57, v11
	v_pk_add_f16 v13, v41, v33 neg_lo:[0,1] neg_hi:[0,1]
	;; [unrolled: 2-line block ×6, first 2 shown]
	v_pk_mul_f16 v47, v47, s15 op_sel_hi:[0,1]
	v_pk_add_f16 v11, v11, v13
	v_pk_add_f16 v13, v46, v38 neg_lo:[0,1] neg_hi:[0,1]
	v_pk_fma_f16 v19, v64, s11, v18 neg_lo:[0,0,1] neg_hi:[0,0,1]
	v_pk_add_f16 v11, v11, v13
	v_pk_add_f16 v13, v47, v39 neg_lo:[0,1] neg_hi:[0,1]
	v_pk_add_f16 v10, v19, v10
	v_pk_add_f16 v11, v13, v11
	v_lshl_add_u32 v13, v2, 5, v7
	ds_write_b16 v13, v3
	ds_write_b128 v13, v[8:11] offset:2
	v_alignbit_b32 v8, v22, v22, 16
	v_alignbit_b32 v9, v12, v12, 16
	;; [unrolled: 1-line block ×4, first 2 shown]
	ds_write_b128 v13, v[8:11] offset:18
.LBB0_15:
	s_or_b64 exec, exec, s[2:3]
	s_movk_i32 s0, 0xf1
	v_mul_lo_u16_sdwa v3, v2, s0 dst_sel:DWORD dst_unused:UNUSED_PAD src0_sel:BYTE_0 src1_sel:DWORD
	v_lshrrev_b16_e32 v33, 12, v3
	v_mul_lo_u16_e32 v3, 17, v33
	v_sub_u16_e32 v34, v2, v3
	v_mov_b32_e32 v3, 5
	v_lshlrev_b32_sdwa v3, v3, v34 dst_sel:DWORD dst_unused:UNUSED_PAD src0_sel:DWORD src1_sel:BYTE_0
	s_waitcnt lgkmcnt(0)
	s_barrier
	global_load_dwordx4 v[10:13], v3, s[8:9]
	global_load_dwordx4 v[15:18], v3, s[8:9] offset:16
	ds_read_u16 v3, v7
	ds_read_u16 v4, v7 offset:204
	ds_read_u16 v5, v7 offset:408
	;; [unrolled: 1-line block ×8, first 2 shown]
	s_movk_i32 s4, 0x3a21
	s_movk_i32 s14, 0x3be1
	;; [unrolled: 1-line block ×5, first 2 shown]
	s_mov_b32 s10, 0xbb84
	s_mov_b32 s15, 0xbaee
	;; [unrolled: 1-line block ×3, first 2 shown]
	s_waitcnt vmcnt(0) lgkmcnt(0)
	s_barrier
	v_cmp_gt_u32_e64 s[0:1], 51, v2
	v_mul_f16_sdwa v9, v4, v10 dst_sel:DWORD dst_unused:UNUSED_PAD src0_sel:DWORD src1_sel:WORD_1
	v_mul_f16_sdwa v14, v31, v10 dst_sel:DWORD dst_unused:UNUSED_PAD src0_sel:DWORD src1_sel:WORD_1
	;; [unrolled: 1-line block ×11, first 2 shown]
	v_fma_f16 v9, v31, v10, v9
	v_fma_f16 v31, v4, v10, -v14
	v_fma_f16 v19, v30, v11, v19
	v_fma_f16 v30, v5, v11, -v20
	v_fma_f16 v14, v28, v13, v40
	v_fma_f16 v4, v21, v13, -v41
	v_fma_f16 v21, v27, v15, v42
	v_fma_f16 v5, v32, v15, -v43
	v_fma_f16 v32, v37, v18, -v49
	v_mul_f16_sdwa v38, v8, v12 dst_sel:DWORD dst_unused:UNUSED_PAD src0_sel:DWORD src1_sel:WORD_1
	v_mul_f16_sdwa v39, v29, v12 dst_sel:DWORD dst_unused:UNUSED_PAD src0_sel:DWORD src1_sel:WORD_1
	v_mul_f16_sdwa v44, v35, v16 dst_sel:DWORD dst_unused:UNUSED_PAD src0_sel:DWORD src1_sel:WORD_1
	v_mul_f16_sdwa v45, v26, v16 dst_sel:DWORD dst_unused:UNUSED_PAD src0_sel:DWORD src1_sel:WORD_1
	v_mul_f16_sdwa v46, v36, v17 dst_sel:DWORD dst_unused:UNUSED_PAD src0_sel:DWORD src1_sel:WORD_1
	v_fma_f16 v28, v36, v17, -v47
	v_fma_f16 v24, v24, v18, v48
	v_sub_f16_e32 v13, v31, v32
	v_add_f16_e32 v18, v14, v21
	v_fma_f16 v20, v29, v12, v38
	v_fma_f16 v29, v8, v12, -v39
	v_fma_f16 v26, v26, v16, v44
	v_fma_f16 v27, v35, v16, -v45
	v_fma_f16 v25, v25, v17, v46
	v_add_f16_e32 v10, v9, v24
	v_sub_f16_e32 v15, v30, v28
	v_sub_f16_e32 v17, v4, v5
	v_mul_f16_e32 v8, 0x3924, v13
	v_fma_f16 v37, v18, s4, v23
	v_add_f16_e32 v12, v20, v26
	v_sub_f16_e32 v16, v29, v27
	v_mul_f16_e32 v36, 0xb924, v17
	v_fma_f16 v8, v15, s14, v8
	v_fma_f16 v37, v10, s6, v37
	v_add_f16_e32 v11, v19, v25
	v_fma_f16 v35, v10, s4, v23
	v_fma_f16 v36, v13, s14, v36
	v_fma_f16 v8, v16, s5, v8
	v_fma_f16 v37, v12, -0.5, v37
	v_add_f16_e32 v38, v17, v13
	v_add_f16_e32 v40, v11, v10
	v_fma_f16 v35, v11, s6, v35
	v_fma_f16 v36, v16, s15, v36
	;; [unrolled: 1-line block ×4, first 2 shown]
	v_mul_f16_e32 v17, 0x3be1, v17
	v_fma_f16 v11, v11, s4, v23
	v_sub_f16_e32 v38, v38, v15
	v_fma_f16 v36, v15, s7, v36
	v_fma_f16 v15, v15, s11, -v17
	v_fma_f16 v11, v18, s6, v11
	v_fma_f16 v15, v16, s5, v15
	v_fma_f16 v11, v12, -0.5, v11
	v_fma_f16 v13, v13, s7, v15
	v_fma_f16 v10, v10, s10, v11
	v_add_f16_e32 v15, v12, v40
	v_sub_f16_e32 v10, v10, v13
	v_add_f16_e32 v39, v23, v12
	v_add_f16_e32 v41, v18, v40
	v_fma_f16 v35, v12, -0.5, v35
	v_add_f16_e32 v15, v14, v15
	v_fma_f16 v11, v13, 2.0, v10
	v_mov_b32_e32 v13, 1
	v_fma_f16 v35, v18, s10, v35
	v_fma_f16 v39, v41, -0.5, v39
	v_add_f16_e32 v15, v21, v15
	v_mul_u32_u24_e32 v12, 0x132, v33
	v_lshlrev_b32_sdwa v13, v13, v34 dst_sel:DWORD dst_unused:UNUSED_PAD src0_sel:DWORD src1_sel:BYTE_0
	v_mul_f16_e32 v42, 0x3aee, v38
	v_sub_f16_e32 v35, v35, v8
	v_sub_f16_e32 v37, v37, v36
	v_fma_f16 v38, v38, s15, v39
	v_add_f16_e32 v15, v23, v15
	v_add3_u32 v23, 0, v12, v13
	v_fma_f16 v8, v8, 2.0, v35
	v_fma_f16 v36, v36, 2.0, v37
	;; [unrolled: 1-line block ×3, first 2 shown]
	ds_write_b16 v23, v15
	ds_write_b16 v23, v35 offset:34
	ds_write_b16 v23, v37 offset:68
	;; [unrolled: 1-line block ×8, first 2 shown]
	s_waitcnt lgkmcnt(0)
	s_barrier
	ds_read_u16 v17, v7
	ds_read_u16 v16, v7 offset:204
	ds_read_u16 v15, v7 offset:408
	;; [unrolled: 1-line block ×7, first 2 shown]
	s_and_saveexec_b64 s[2:3], s[0:1]
	s_cbranch_execz .LBB0_17
; %bb.16:
	ds_read_u16 v8, v7 offset:816
	ds_read_u16 v6, v7 offset:1734
.LBB0_17:
	s_or_b64 exec, exec, s[2:3]
	v_sub_f16_e32 v24, v9, v24
	v_sub_f16_e32 v19, v19, v25
	v_mul_f16_e32 v9, 0x3924, v24
	v_sub_f16_e32 v14, v14, v21
	v_sub_f16_e32 v20, v20, v26
	v_fma_f16 v9, v19, s14, v9
	v_mul_f16_e32 v26, 0xb924, v14
	v_add_f16_e32 v31, v31, v32
	v_add_f16_e32 v28, v30, v28
	v_fma_f16 v9, v20, s5, v9
	v_fma_f16 v26, v24, s14, v26
	v_add_f16_e32 v27, v29, v27
	v_fma_f16 v9, v14, s7, v9
	v_fma_f16 v26, v20, s15, v26
	v_add_f16_e32 v30, v14, v24
	v_add_f16_e32 v34, v28, v31
	v_mul_f16_e32 v14, 0x3be1, v14
	v_fma_f16 v26, v19, s7, v26
	v_sub_f16_e32 v30, v30, v19
	v_fma_f16 v14, v19, s11, -v14
	v_add_f16_e32 v19, v27, v34
	v_add_f16_e32 v25, v4, v5
	;; [unrolled: 1-line block ×3, first 2 shown]
	v_fma_f16 v29, v25, s4, v3
	v_add_f16_e32 v4, v5, v4
	v_fma_f16 v21, v31, s4, v3
	v_fma_f16 v29, v31, s6, v29
	v_add_f16_e32 v33, v3, v27
	v_add_f16_e32 v4, v3, v4
	v_fma_f16 v3, v28, s4, v3
	v_fma_f16 v21, v28, s6, v21
	v_fma_f16 v29, v27, -0.5, v29
	v_fma_f16 v3, v25, s6, v3
	v_fma_f16 v21, v27, -0.5, v21
	v_fma_f16 v29, v28, s10, v29
	v_add_f16_e32 v35, v25, v34
	v_fma_f16 v14, v20, s5, v14
	v_fma_f16 v3, v27, -0.5, v3
	v_fma_f16 v21, v25, s10, v21
	v_add_f16_e32 v29, v26, v29
	v_fma_f16 v33, v35, -0.5, v33
	v_fma_f16 v14, v24, s7, v14
	v_fma_f16 v3, v31, s10, v3
	v_add_f16_e32 v21, v9, v21
	v_fma_f16 v26, v26, -2.0, v29
	v_mul_f16_e32 v32, 0x3aee, v30
	v_fma_f16 v30, v30, s5, v33
	v_add_f16_e32 v3, v14, v3
	v_fma_f16 v9, v9, -2.0, v21
	v_fma_f16 v32, v32, -2.0, v30
	v_fma_f16 v5, v14, -2.0, v3
	s_waitcnt lgkmcnt(0)
	s_barrier
	ds_write_b16 v23, v4
	ds_write_b16 v23, v21 offset:34
	ds_write_b16 v23, v29 offset:68
	;; [unrolled: 1-line block ×8, first 2 shown]
	s_waitcnt lgkmcnt(0)
	s_barrier
	ds_read_u16 v20, v7
	ds_read_u16 v21, v7 offset:204
	ds_read_u16 v23, v7 offset:408
	;; [unrolled: 1-line block ×7, first 2 shown]
	v_lshrrev_b32_e32 v19, 16, v22
	s_and_saveexec_b64 s[2:3], s[0:1]
	s_cbranch_execz .LBB0_19
; %bb.18:
	ds_read_u16 v9, v7 offset:816
	ds_read_u16 v19, v7 offset:1734
.LBB0_19:
	s_or_b64 exec, exec, s[2:3]
	v_mov_b32_e32 v3, 0
	v_add_u32_e32 v14, 0x66, v2
	v_lshlrev_b64 v[4:5], 2, v[2:3]
	v_subrev_u32_e32 v32, 51, v2
	v_cndmask_b32_e64 v34, v32, v14, s[0:1]
	v_mov_b32_e32 v35, v3
	v_mov_b32_e32 v36, s9
	v_add_co_u32_e64 v30, s[2:3], s8, v4
	v_lshlrev_b64 v[32:33], 2, v[34:35]
	v_addc_co_u32_e64 v31, s[2:3], v36, v5, s[2:3]
	v_add_co_u32_e64 v35, s[2:3], s8, v32
	v_addc_co_u32_e64 v36, s[2:3], v36, v33, s[2:3]
	v_add_u32_e32 v22, 0x132, v2
	s_movk_i32 s2, 0x358b
	v_mul_u32_u24_sdwa v3, v22, s2 dst_sel:DWORD dst_unused:UNUSED_PAD src0_sel:WORD_0 src1_sel:DWORD
	v_lshrrev_b32_e32 v3, 21, v3
	v_add_u32_e32 v37, 0x198, v2
	v_mul_lo_u16_e32 v3, 0x99, v3
	v_sub_u16_e32 v38, v22, v3
	v_mul_u32_u24_sdwa v3, v37, s2 dst_sel:DWORD dst_unused:UNUSED_PAD src0_sel:WORD_0 src1_sel:DWORD
	v_lshrrev_b32_e32 v3, 21, v3
	v_mul_lo_u16_e32 v3, 0x99, v3
	global_load_dword v29, v[30:31], off offset:544
	v_sub_u16_e32 v37, v37, v3
	v_lshlrev_b32_e32 v39, 2, v38
	v_lshlrev_b32_e32 v40, 2, v37
	global_load_dword v32, v[35:36], off offset:544
	global_load_dword v3, v39, s[8:9] offset:544
	global_load_dword v22, v40, s[8:9] offset:544
	global_load_dword v33, v[30:31], off offset:748
	v_mov_b32_e32 v30, 0x264
	v_cmp_lt_u32_e64 s[2:3], 50, v2
	v_cndmask_b32_e64 v30, 0, v30, s[2:3]
	v_lshlrev_b32_e32 v31, 1, v34
	v_add3_u32 v30, 0, v30, v31
	v_lshl_add_u32 v31, v38, 1, 0
	s_waitcnt vmcnt(0) lgkmcnt(0)
	s_barrier
	v_mul_f16_sdwa v34, v28, v29 dst_sel:DWORD dst_unused:UNUSED_PAD src0_sel:DWORD src1_sel:WORD_1
	v_fma_f16 v34, v13, v29, v34
	v_mul_f16_sdwa v35, v27, v32 dst_sel:DWORD dst_unused:UNUSED_PAD src0_sel:DWORD src1_sel:WORD_1
	v_mul_f16_sdwa v38, v26, v3 dst_sel:DWORD dst_unused:UNUSED_PAD src0_sel:DWORD src1_sel:WORD_1
	;; [unrolled: 1-line block ×3, first 2 shown]
	v_fma_f16 v35, v12, v32, v35
	v_sub_f16_e32 v34, v17, v34
	v_fma_f16 v36, v10, v33, v36
	v_fma_f16 v38, v11, v3, v38
	v_fma_f16 v17, v17, 2.0, -v34
	v_sub_f16_e32 v35, v16, v35
	ds_write_b16 v7, v34 offset:306
	v_sub_f16_e32 v34, v15, v36
	v_sub_f16_e32 v36, v18, v38
	v_fma_f16 v16, v16, 2.0, -v35
	ds_write_b16 v7, v17
	ds_write_b16 v30, v35 offset:306
	v_fma_f16 v17, v18, 2.0, -v36
	v_lshl_add_u32 v18, v37, 1, 0
	v_fma_f16 v15, v15, 2.0, -v34
	ds_write_b16 v30, v16
	ds_write_b16 v7, v34 offset:1020
	ds_write_b16 v31, v36 offset:1530
	;; [unrolled: 1-line block ×4, first 2 shown]
	s_and_saveexec_b64 s[2:3], s[0:1]
	s_cbranch_execz .LBB0_21
; %bb.20:
	v_mul_f16_sdwa v15, v19, v22 dst_sel:DWORD dst_unused:UNUSED_PAD src0_sel:DWORD src1_sel:WORD_1
	v_fma_f16 v15, v6, v22, v15
	v_sub_f16_e32 v15, v8, v15
	v_fma_f16 v8, v8, 2.0, -v15
	ds_write_b16 v18, v8 offset:1224
	ds_write_b16 v18, v15 offset:1530
.LBB0_21:
	s_or_b64 exec, exec, s[2:3]
	v_mul_f16_sdwa v8, v13, v29 dst_sel:DWORD dst_unused:UNUSED_PAD src0_sel:DWORD src1_sel:WORD_1
	v_mul_f16_sdwa v12, v12, v32 dst_sel:DWORD dst_unused:UNUSED_PAD src0_sel:DWORD src1_sel:WORD_1
	;; [unrolled: 1-line block ×4, first 2 shown]
	v_fma_f16 v8, v28, v29, -v8
	v_fma_f16 v12, v27, v32, -v12
	;; [unrolled: 1-line block ×4, first 2 shown]
	v_sub_f16_e32 v25, v20, v8
	v_sub_f16_e32 v26, v21, v12
	;; [unrolled: 1-line block ×4, first 2 shown]
	s_waitcnt lgkmcnt(0)
	s_barrier
	ds_read_u16 v3, v7
	ds_read_u16 v8, v7 offset:204
	ds_read_u16 v13, v7 offset:816
	;; [unrolled: 1-line block ×8, first 2 shown]
	v_fma_f16 v20, v20, 2.0, -v25
	v_fma_f16 v21, v21, 2.0, -v26
	;; [unrolled: 1-line block ×4, first 2 shown]
	s_waitcnt lgkmcnt(0)
	s_barrier
	ds_write_b16 v7, v20
	ds_write_b16 v7, v25 offset:306
	ds_write_b16 v30, v21
	ds_write_b16 v30, v26 offset:306
	ds_write_b16 v7, v23 offset:714
	;; [unrolled: 1-line block ×5, first 2 shown]
	s_and_saveexec_b64 s[2:3], s[0:1]
	s_cbranch_execz .LBB0_23
; %bb.22:
	v_mul_f16_sdwa v6, v6, v22 dst_sel:DWORD dst_unused:UNUSED_PAD src0_sel:DWORD src1_sel:WORD_1
	v_fma_f16 v6, v19, v22, -v6
	v_sub_f16_e32 v6, v9, v6
	v_fma_f16 v9, v9, 2.0, -v6
	ds_write_b16 v18, v9 offset:1224
	ds_write_b16 v18, v6 offset:1530
.LBB0_23:
	s_or_b64 exec, exec, s[2:3]
	s_waitcnt lgkmcnt(0)
	s_barrier
	s_and_saveexec_b64 s[0:1], vcc
	s_cbranch_execz .LBB0_25
; %bb.24:
	v_add_u32_e32 v6, 0xcc, v2
	v_lshlrev_b32_e32 v18, 1, v6
	v_mov_b32_e32 v19, 0
	v_lshlrev_b64 v[20:21], 2, v[18:19]
	v_lshlrev_b32_e32 v18, 1, v14
	v_mov_b32_e32 v9, s9
	v_add_co_u32_e32 v20, vcc, s8, v20
	v_lshlrev_b64 v[22:23], 2, v[18:19]
	v_addc_co_u32_e32 v21, vcc, v9, v21, vcc
	v_lshlrev_b32_e32 v18, 1, v2
	v_add_co_u32_e32 v22, vcc, s8, v22
	v_lshlrev_b64 v[24:25], 2, v[18:19]
	v_addc_co_u32_e32 v23, vcc, v9, v23, vcc
	global_load_dwordx2 v[20:21], v[20:21], off offset:1156
	v_add_co_u32_e32 v24, vcc, s8, v24
	global_load_dwordx2 v[22:23], v[22:23], off offset:1156
	v_addc_co_u32_e32 v25, vcc, v9, v25, vcc
	global_load_dwordx2 v[24:25], v[24:25], off offset:1156
	ds_read_u16 v2, v7 offset:1632
	ds_read_u16 v9, v7 offset:1428
	;; [unrolled: 1-line block ×8, first 2 shown]
	ds_read_u16 v7, v7
	v_add_co_u32_e32 v0, vcc, s12, v0
	s_mov_b32 s0, 0xbaee
	s_movk_i32 s1, 0x3aee
	s_waitcnt vmcnt(2)
	v_mul_f16_sdwa v30, v16, v20 dst_sel:DWORD dst_unused:UNUSED_PAD src0_sel:DWORD src1_sel:WORD_1
	v_mul_f16_sdwa v31, v17, v21 dst_sel:DWORD dst_unused:UNUSED_PAD src0_sel:DWORD src1_sel:WORD_1
	s_waitcnt lgkmcnt(5)
	v_mul_f16_sdwa v32, v18, v20 dst_sel:DWORD dst_unused:UNUSED_PAD src0_sel:DWORD src1_sel:WORD_1
	v_mul_f16_sdwa v33, v2, v21 dst_sel:DWORD dst_unused:UNUSED_PAD src0_sel:DWORD src1_sel:WORD_1
	v_fma_f16 v18, v18, v20, -v30
	v_fma_f16 v2, v2, v21, -v31
	v_fma_f16 v16, v16, v20, v32
	v_fma_f16 v17, v17, v21, v33
	s_waitcnt vmcnt(1)
	v_mul_f16_sdwa v20, v13, v22 dst_sel:DWORD dst_unused:UNUSED_PAD src0_sel:DWORD src1_sel:WORD_1
	v_mul_f16_sdwa v21, v15, v23 dst_sel:DWORD dst_unused:UNUSED_PAD src0_sel:DWORD src1_sel:WORD_1
	v_mul_f16_sdwa v31, v9, v23 dst_sel:DWORD dst_unused:UNUSED_PAD src0_sel:DWORD src1_sel:WORD_1
	s_waitcnt lgkmcnt(4)
	v_mul_f16_sdwa v30, v26, v22 dst_sel:DWORD dst_unused:UNUSED_PAD src0_sel:DWORD src1_sel:WORD_1
	v_add_f16_e32 v32, v18, v2
	v_sub_f16_e32 v35, v18, v2
	s_waitcnt lgkmcnt(2)
	v_add_f16_e32 v18, v28, v18
	v_fma_f16 v20, v26, v22, -v20
	v_fma_f16 v9, v9, v23, -v21
	v_fma_f16 v15, v15, v23, v31
	s_waitcnt vmcnt(0)
	v_mul_f16_sdwa v23, v27, v24 dst_sel:DWORD dst_unused:UNUSED_PAD src0_sel:DWORD src1_sel:WORD_1
	v_mul_f16_sdwa v26, v14, v25 dst_sel:DWORD dst_unused:UNUSED_PAD src0_sel:DWORD src1_sel:WORD_1
	v_fma_f16 v13, v13, v22, v30
	v_mul_f16_sdwa v21, v11, v24 dst_sel:DWORD dst_unused:UNUSED_PAD src0_sel:DWORD src1_sel:WORD_1
	v_mul_f16_sdwa v22, v10, v25 dst_sel:DWORD dst_unused:UNUSED_PAD src0_sel:DWORD src1_sel:WORD_1
	v_add_f16_e32 v30, v18, v2
	v_add_f16_e32 v2, v20, v9
	v_sub_f16_e32 v31, v20, v9
	s_waitcnt lgkmcnt(1)
	v_add_f16_e32 v20, v29, v20
	v_fma_f16 v11, v11, v24, v23
	v_fma_f16 v10, v10, v25, v26
	v_sub_f16_e32 v33, v16, v17
	v_add_f16_e32 v34, v16, v17
	v_add_f16_e32 v16, v12, v16
	;; [unrolled: 1-line block ×5, first 2 shown]
	v_sub_f16_e32 v17, v13, v15
	v_add_f16_e32 v18, v13, v15
	v_add_f16_e32 v13, v8, v13
	v_fma_f16 v21, v27, v24, -v21
	v_fma_f16 v14, v14, v25, -v22
	v_fma_f16 v20, v20, -0.5, v3
	v_add_f16_e32 v3, v3, v11
	v_fma_f16 v8, v18, -0.5, v8
	v_add_f16_e32 v13, v13, v15
	v_add_f16_e32 v15, v21, v14
	v_sub_f16_e32 v18, v11, v10
	v_add_f16_e32 v3, v3, v10
	v_mov_b32_e32 v10, s13
	s_waitcnt lgkmcnt(0)
	v_fma_f16 v15, v15, -0.5, v7
	v_add_f16_e32 v7, v7, v21
	v_addc_co_u32_e32 v1, vcc, v10, v1, vcc
	v_fma_f16 v2, v2, -0.5, v29
	v_sub_f16_e32 v27, v21, v14
	v_add_f16_e32 v7, v7, v14
	v_add_co_u32_e32 v0, vcc, v0, v4
	v_fma_f16 v28, v32, -0.5, v28
	v_fma_f16 v25, v17, s0, v2
	v_fma_f16 v2, v17, s1, v2
	;; [unrolled: 1-line block ×5, first 2 shown]
	v_addc_co_u32_e32 v1, vcc, v1, v5, vcc
	v_pack_b32_f16 v3, v3, v7
	v_fma_f16 v22, v33, s0, v28
	v_fma_f16 v24, v33, s1, v28
	;; [unrolled: 1-line block ×3, first 2 shown]
	global_store_dword v[0:1], v3, off
	v_pack_b32_f16 v3, v18, v15
	v_fma_f16 v12, v34, -0.5, v12
	global_store_dword v[0:1], v3, off offset:1224
	v_pack_b32_f16 v3, v28, v17
	v_fma_f16 v23, v35, s1, v12
	v_fma_f16 v12, v35, s0, v12
	;; [unrolled: 1-line block ×4, first 2 shown]
	global_store_dword v[0:1], v3, off offset:2448
	v_pack_b32_f16 v3, v13, v9
	s_mov_b32 s0, 0xd62b80d7
	global_store_dword v[0:1], v3, off offset:408
	v_mul_hi_u32 v3, v6, s0
	v_pack_b32_f16 v2, v8, v2
	global_store_dword v[0:1], v2, off offset:1632
	v_pack_b32_f16 v2, v26, v25
	global_store_dword v[0:1], v2, off offset:2856
	v_lshrrev_b32_e32 v2, 8, v3
	v_mul_u32_u24_e32 v18, 0x264, v2
	v_lshlrev_b64 v[2:3], 2, v[18:19]
	v_add_co_u32_e32 v0, vcc, v0, v2
	v_addc_co_u32_e32 v1, vcc, v1, v3, vcc
	v_pack_b32_f16 v2, v16, v30
	global_store_dword v[0:1], v2, off offset:816
	v_pack_b32_f16 v2, v12, v24
	global_store_dword v[0:1], v2, off offset:2040
	;; [unrolled: 2-line block ×3, first 2 shown]
.LBB0_25:
	s_endpgm
	.section	.rodata,"a",@progbits
	.p2align	6, 0x0
	.amdhsa_kernel fft_rtc_back_len918_factors_17_9_2_3_wgs_102_tpt_102_halfLds_half_ip_CI_unitstride_sbrr_dirReg
		.amdhsa_group_segment_fixed_size 0
		.amdhsa_private_segment_fixed_size 0
		.amdhsa_kernarg_size 88
		.amdhsa_user_sgpr_count 6
		.amdhsa_user_sgpr_private_segment_buffer 1
		.amdhsa_user_sgpr_dispatch_ptr 0
		.amdhsa_user_sgpr_queue_ptr 0
		.amdhsa_user_sgpr_kernarg_segment_ptr 1
		.amdhsa_user_sgpr_dispatch_id 0
		.amdhsa_user_sgpr_flat_scratch_init 0
		.amdhsa_user_sgpr_private_segment_size 0
		.amdhsa_uses_dynamic_stack 0
		.amdhsa_system_sgpr_private_segment_wavefront_offset 0
		.amdhsa_system_sgpr_workgroup_id_x 1
		.amdhsa_system_sgpr_workgroup_id_y 0
		.amdhsa_system_sgpr_workgroup_id_z 0
		.amdhsa_system_sgpr_workgroup_info 0
		.amdhsa_system_vgpr_workitem_id 0
		.amdhsa_next_free_vgpr 92
		.amdhsa_next_free_sgpr 28
		.amdhsa_reserve_vcc 1
		.amdhsa_reserve_flat_scratch 0
		.amdhsa_float_round_mode_32 0
		.amdhsa_float_round_mode_16_64 0
		.amdhsa_float_denorm_mode_32 3
		.amdhsa_float_denorm_mode_16_64 3
		.amdhsa_dx10_clamp 1
		.amdhsa_ieee_mode 1
		.amdhsa_fp16_overflow 0
		.amdhsa_exception_fp_ieee_invalid_op 0
		.amdhsa_exception_fp_denorm_src 0
		.amdhsa_exception_fp_ieee_div_zero 0
		.amdhsa_exception_fp_ieee_overflow 0
		.amdhsa_exception_fp_ieee_underflow 0
		.amdhsa_exception_fp_ieee_inexact 0
		.amdhsa_exception_int_div_zero 0
	.end_amdhsa_kernel
	.text
.Lfunc_end0:
	.size	fft_rtc_back_len918_factors_17_9_2_3_wgs_102_tpt_102_halfLds_half_ip_CI_unitstride_sbrr_dirReg, .Lfunc_end0-fft_rtc_back_len918_factors_17_9_2_3_wgs_102_tpt_102_halfLds_half_ip_CI_unitstride_sbrr_dirReg
                                        ; -- End function
	.section	.AMDGPU.csdata,"",@progbits
; Kernel info:
; codeLenInByte = 9864
; NumSgprs: 32
; NumVgprs: 92
; ScratchSize: 0
; MemoryBound: 0
; FloatMode: 240
; IeeeMode: 1
; LDSByteSize: 0 bytes/workgroup (compile time only)
; SGPRBlocks: 3
; VGPRBlocks: 22
; NumSGPRsForWavesPerEU: 32
; NumVGPRsForWavesPerEU: 92
; Occupancy: 2
; WaveLimiterHint : 1
; COMPUTE_PGM_RSRC2:SCRATCH_EN: 0
; COMPUTE_PGM_RSRC2:USER_SGPR: 6
; COMPUTE_PGM_RSRC2:TRAP_HANDLER: 0
; COMPUTE_PGM_RSRC2:TGID_X_EN: 1
; COMPUTE_PGM_RSRC2:TGID_Y_EN: 0
; COMPUTE_PGM_RSRC2:TGID_Z_EN: 0
; COMPUTE_PGM_RSRC2:TIDIG_COMP_CNT: 0
	.type	__hip_cuid_3a4fcbce847bb322,@object ; @__hip_cuid_3a4fcbce847bb322
	.section	.bss,"aw",@nobits
	.globl	__hip_cuid_3a4fcbce847bb322
__hip_cuid_3a4fcbce847bb322:
	.byte	0                               ; 0x0
	.size	__hip_cuid_3a4fcbce847bb322, 1

	.ident	"AMD clang version 19.0.0git (https://github.com/RadeonOpenCompute/llvm-project roc-6.4.0 25133 c7fe45cf4b819c5991fe208aaa96edf142730f1d)"
	.section	".note.GNU-stack","",@progbits
	.addrsig
	.addrsig_sym __hip_cuid_3a4fcbce847bb322
	.amdgpu_metadata
---
amdhsa.kernels:
  - .args:
      - .actual_access:  read_only
        .address_space:  global
        .offset:         0
        .size:           8
        .value_kind:     global_buffer
      - .offset:         8
        .size:           8
        .value_kind:     by_value
      - .actual_access:  read_only
        .address_space:  global
        .offset:         16
        .size:           8
        .value_kind:     global_buffer
      - .actual_access:  read_only
        .address_space:  global
        .offset:         24
        .size:           8
        .value_kind:     global_buffer
      - .offset:         32
        .size:           8
        .value_kind:     by_value
      - .actual_access:  read_only
        .address_space:  global
        .offset:         40
        .size:           8
        .value_kind:     global_buffer
      - .actual_access:  read_only
        .address_space:  global
        .offset:         48
        .size:           8
        .value_kind:     global_buffer
      - .offset:         56
        .size:           4
        .value_kind:     by_value
      - .actual_access:  read_only
        .address_space:  global
        .offset:         64
        .size:           8
        .value_kind:     global_buffer
      - .actual_access:  read_only
        .address_space:  global
        .offset:         72
        .size:           8
        .value_kind:     global_buffer
      - .address_space:  global
        .offset:         80
        .size:           8
        .value_kind:     global_buffer
    .group_segment_fixed_size: 0
    .kernarg_segment_align: 8
    .kernarg_segment_size: 88
    .language:       OpenCL C
    .language_version:
      - 2
      - 0
    .max_flat_workgroup_size: 102
    .name:           fft_rtc_back_len918_factors_17_9_2_3_wgs_102_tpt_102_halfLds_half_ip_CI_unitstride_sbrr_dirReg
    .private_segment_fixed_size: 0
    .sgpr_count:     32
    .sgpr_spill_count: 0
    .symbol:         fft_rtc_back_len918_factors_17_9_2_3_wgs_102_tpt_102_halfLds_half_ip_CI_unitstride_sbrr_dirReg.kd
    .uniform_work_group_size: 1
    .uses_dynamic_stack: false
    .vgpr_count:     92
    .vgpr_spill_count: 0
    .wavefront_size: 64
amdhsa.target:   amdgcn-amd-amdhsa--gfx906
amdhsa.version:
  - 1
  - 2
...

	.end_amdgpu_metadata
